;; amdgpu-corpus repo=zjin-lcf/HeCBench kind=compiled arch=gfx1030 opt=O3
	.amdgcn_target "amdgcn-amd-amdhsa--gfx1030"
	.amdhsa_code_object_version 6
	.text
	.protected	_Z17chemicalPotentialPA256_A256_KdPA256_A256_dddddddd ; -- Begin function _Z17chemicalPotentialPA256_A256_KdPA256_A256_dddddddd
	.globl	_Z17chemicalPotentialPA256_A256_KdPA256_A256_dddddddd
	.p2align	8
	.type	_Z17chemicalPotentialPA256_A256_KdPA256_A256_dddddddd,@function
_Z17chemicalPotentialPA256_A256_KdPA256_A256_dddddddd: ; @_Z17chemicalPotentialPA256_A256_KdPA256_A256_dddddddd
; %bb.0:
	s_load_dwordx2 s[0:1], s[4:5], 0x54
	s_waitcnt lgkmcnt(0)
	s_lshr_b32 s2, s0, 16
	s_and_b32 s1, s1, 0xffff
	v_mad_u64_u32 v[3:4], null, s7, s2, v[1:2]
	s_and_b32 s0, s0, 0xffff
	v_mad_u64_u32 v[5:6], null, s6, s0, v[0:1]
	s_mov_b32 s0, exec_lo
	v_mad_u64_u32 v[0:1], null, s8, s1, v[2:3]
	v_or3_b32 v1, v3, v5, v0
	v_cmpx_gt_u32_e32 0x100, v1
	s_cbranch_execz .LBB0_2
; %bb.1:
	s_load_dwordx16 s[8:23], s[4:5], 0x0
	v_mov_b32_e32 v1, 0
	v_sub_co_u32 v2, s0, v5, 1
	v_sub_co_u32 v8, s1, v0, 1
	v_mov_b32_e32 v4, v1
	v_lshlrev_b64 v[9:10], 19, v[0:1]
	v_cndmask_b32_e64 v7, v2, 0xff, s0
	v_sub_co_u32 v2, s0, v3, 1
	v_mov_b32_e32 v6, v1
	v_lshlrev_b64 v[11:12], 11, v[3:4]
	v_add_nc_u32_e32 v17, 1, v0
	v_cndmask_b32_e64 v2, v2, 0xff, s0
	v_cmp_ne_u32_e32 vcc_lo, 0xff, v0
	v_lshlrev_b64 v[13:14], 3, v[5:6]
	v_add_nc_u32_e32 v0, 1, v5
	v_cndmask_b32_e64 v4, v8, 0xff, s1
	v_add_nc_u32_e32 v6, 1, v3
	s_waitcnt lgkmcnt(0)
	v_add_co_u32 v21, s0, s8, v9
	v_add_co_ci_u32_e64 v22, null, s9, v10, s0
	v_mov_b32_e32 v8, v1
	v_add_co_u32 v23, s0, v21, v11
	v_add_co_ci_u32_e64 v24, null, v22, v12, s0
	v_lshlrev_b64 v[19:20], 3, v[7:8]
	v_add_co_u32 v15, s0, v23, v13
	v_add_co_ci_u32_e64 v16, null, v24, v14, s0
	v_cmp_ne_u32_e64 s0, 0xff, v5
	v_cndmask_b32_e32 v5, 0, v17, vcc_lo
	v_cmp_ne_u32_e32 vcc_lo, 0xff, v3
	v_mov_b32_e32 v7, v1
	v_mov_b32_e32 v3, v1
	v_cndmask_b32_e64 v0, 0, v0, s0
	s_load_dwordx2 s[2:3], s[4:5], 0x40
	v_cndmask_b32_e32 v6, 0, v6, vcc_lo
	v_lshlrev_b64 v[2:3], 11, v[2:3]
	v_lshlrev_b64 v[17:18], 3, v[0:1]
	;; [unrolled: 1-line block ×3, first 2 shown]
	v_add_co_u32 v17, vcc_lo, v23, v17
	v_add_co_ci_u32_e64 v18, null, v24, v18, vcc_lo
	v_add_co_u32 v19, vcc_lo, v23, v19
	v_add_co_ci_u32_e64 v20, null, v24, v20, vcc_lo
	;; [unrolled: 2-line block ×4, first 2 shown]
	v_add_co_u32 v0, vcc_lo, v21, v2
	v_mov_b32_e32 v6, v1
	v_add_co_ci_u32_e64 v3, null, v22, v3, vcc_lo
	v_add_co_u32 v2, vcc_lo, v0, v13
	v_lshlrev_b64 v[21:22], 19, v[5:6]
	v_mov_b32_e32 v5, v1
	v_add_co_ci_u32_e64 v3, null, v3, v14, vcc_lo
	s_clause 0x3
	global_load_dwordx2 v[0:1], v[17:18], off
	global_load_dwordx2 v[17:18], v[19:20], off
	;; [unrolled: 1-line block ×4, first 2 shown]
	v_lshlrev_b64 v[4:5], 19, v[4:5]
	v_add_co_u32 v8, vcc_lo, s8, v21
	v_add_co_ci_u32_e64 v19, null, s9, v22, vcc_lo
	v_add_co_u32 v4, vcc_lo, s8, v4
	v_add_co_ci_u32_e64 v5, null, s9, v5, vcc_lo
	;; [unrolled: 2-line block ×6, first 2 shown]
	s_clause 0x2
	global_load_dwordx2 v[15:16], v[15:16], off
	global_load_dwordx2 v[4:5], v[4:5], off
	;; [unrolled: 1-line block ×3, first 2 shown]
	v_mul_f64 v[21:22], s[16:17], s[16:17]
	s_waitcnt vmcnt(5)
	v_add_f64 v[0:1], v[0:1], v[17:18]
	v_mul_f64 v[17:18], s[14:15], s[14:15]
	s_waitcnt vmcnt(3)
	v_add_f64 v[2:3], v[6:7], v[2:3]
	v_mul_f64 v[6:7], s[12:13], s[12:13]
	s_waitcnt vmcnt(2)
	v_fma_f64 v[0:1], v[15:16], -2.0, v[0:1]
	v_fma_f64 v[2:3], v[15:16], -2.0, v[2:3]
	s_waitcnt vmcnt(0)
	v_add_f64 v[4:5], v[4:5], v[19:20]
	v_add_f64 v[37:38], v[15:16], -1.0
	v_add_f64 v[47:48], v[15:16], v[15:16]
	v_div_scale_f64 v[19:20], null, v[6:7], v[6:7], v[0:1]
	v_fma_f64 v[4:5], v[15:16], -2.0, v[4:5]
	v_div_scale_f64 v[23:24], null, v[17:18], v[17:18], v[2:3]
	v_div_scale_f64 v[39:40], vcc_lo, v[0:1], v[6:7], v[0:1]
	v_div_scale_f64 v[41:42], s0, v[2:3], v[17:18], v[2:3]
	v_mul_f64 v[37:38], s[22:23], v[37:38]
	v_rcp_f64_e32 v[25:26], v[19:20]
	v_div_scale_f64 v[27:28], null, v[21:22], v[21:22], v[4:5]
	v_rcp_f64_e32 v[29:30], v[23:24]
	v_div_scale_f64 v[43:44], s1, v[4:5], v[21:22], v[4:5]
	v_rcp_f64_e32 v[31:32], v[27:28]
	v_fma_f64 v[33:34], -v[19:20], v[25:26], 1.0
	v_fma_f64 v[35:36], -v[23:24], v[29:30], 1.0
	v_fma_f64 v[25:26], v[25:26], v[33:34], v[25:26]
	v_fma_f64 v[33:34], -v[27:28], v[31:32], 1.0
	v_fma_f64 v[29:30], v[29:30], v[35:36], v[29:30]
	;; [unrolled: 2-line block ×5, first 2 shown]
	v_add_f64 v[33:34], v[15:16], 1.0
	v_mul_f64 v[45:46], v[39:40], v[25:26]
	v_fma_f64 v[31:32], v[31:32], v[35:36], v[31:32]
	v_mul_f64 v[35:36], v[41:42], v[29:30]
	v_fma_f64 v[33:34], s[20:21], v[33:34], v[37:38]
	v_fma_f64 v[19:20], -v[19:20], v[45:46], v[39:40]
	v_mul_f64 v[37:38], v[43:44], v[31:32]
	v_fma_f64 v[23:24], -v[23:24], v[35:36], v[41:42]
	s_waitcnt lgkmcnt(0)
	v_fma_f64 v[33:34], -s[2:3], v[47:48], v[33:34]
	v_div_fmas_f64 v[19:20], v[19:20], v[25:26], v[45:46]
	s_mov_b32 vcc_lo, s0
	v_fma_f64 v[25:26], -v[27:28], v[37:38], v[43:44]
	v_div_fmas_f64 v[23:24], v[23:24], v[29:30], v[35:36]
	s_mov_b32 vcc_lo, s1
	v_mul_f64 v[27:28], 0x40120000, v[33:34]
	v_div_fixup_f64 v[0:1], v[19:20], v[6:7], v[0:1]
	v_mul_f64 v[19:20], v[15:16], v[15:16]
	v_div_fmas_f64 v[6:7], v[25:26], v[31:32], v[37:38]
	v_div_fixup_f64 v[2:3], v[23:24], v[17:18], v[2:3]
	v_fma_f64 v[17:18], 0x40080000, v[15:16], v[27:28]
	v_div_fixup_f64 v[4:5], v[6:7], v[21:22], v[4:5]
	v_add_f64 v[0:1], v[0:1], v[2:3]
	v_fma_f64 v[2:3], v[15:16], v[19:20], v[17:18]
	v_add_f64 v[0:1], v[0:1], v[4:5]
	v_fma_f64 v[0:1], -s[18:19], v[0:1], v[2:3]
	v_add_co_u32 v2, vcc_lo, s10, v9
	v_add_co_ci_u32_e64 v3, null, s11, v10, vcc_lo
	v_add_co_u32 v2, vcc_lo, v2, v11
	v_add_co_ci_u32_e64 v3, null, v3, v12, vcc_lo
	;; [unrolled: 2-line block ×3, first 2 shown]
	global_store_dwordx2 v[2:3], v[0:1], off
.LBB0_2:
	s_endpgm
	.section	.rodata,"a",@progbits
	.p2align	6, 0x0
	.amdhsa_kernel _Z17chemicalPotentialPA256_A256_KdPA256_A256_dddddddd
		.amdhsa_group_segment_fixed_size 0
		.amdhsa_private_segment_fixed_size 0
		.amdhsa_kernarg_size 328
		.amdhsa_user_sgpr_count 6
		.amdhsa_user_sgpr_private_segment_buffer 1
		.amdhsa_user_sgpr_dispatch_ptr 0
		.amdhsa_user_sgpr_queue_ptr 0
		.amdhsa_user_sgpr_kernarg_segment_ptr 1
		.amdhsa_user_sgpr_dispatch_id 0
		.amdhsa_user_sgpr_flat_scratch_init 0
		.amdhsa_user_sgpr_private_segment_size 0
		.amdhsa_wavefront_size32 1
		.amdhsa_uses_dynamic_stack 0
		.amdhsa_system_sgpr_private_segment_wavefront_offset 0
		.amdhsa_system_sgpr_workgroup_id_x 1
		.amdhsa_system_sgpr_workgroup_id_y 1
		.amdhsa_system_sgpr_workgroup_id_z 1
		.amdhsa_system_sgpr_workgroup_info 0
		.amdhsa_system_vgpr_workitem_id 2
		.amdhsa_next_free_vgpr 49
		.amdhsa_next_free_sgpr 24
		.amdhsa_reserve_vcc 1
		.amdhsa_reserve_flat_scratch 0
		.amdhsa_float_round_mode_32 0
		.amdhsa_float_round_mode_16_64 0
		.amdhsa_float_denorm_mode_32 3
		.amdhsa_float_denorm_mode_16_64 3
		.amdhsa_dx10_clamp 1
		.amdhsa_ieee_mode 1
		.amdhsa_fp16_overflow 0
		.amdhsa_workgroup_processor_mode 1
		.amdhsa_memory_ordered 1
		.amdhsa_forward_progress 1
		.amdhsa_shared_vgpr_count 0
		.amdhsa_exception_fp_ieee_invalid_op 0
		.amdhsa_exception_fp_denorm_src 0
		.amdhsa_exception_fp_ieee_div_zero 0
		.amdhsa_exception_fp_ieee_overflow 0
		.amdhsa_exception_fp_ieee_underflow 0
		.amdhsa_exception_fp_ieee_inexact 0
		.amdhsa_exception_int_div_zero 0
	.end_amdhsa_kernel
	.text
.Lfunc_end0:
	.size	_Z17chemicalPotentialPA256_A256_KdPA256_A256_dddddddd, .Lfunc_end0-_Z17chemicalPotentialPA256_A256_KdPA256_A256_dddddddd
                                        ; -- End function
	.set _Z17chemicalPotentialPA256_A256_KdPA256_A256_dddddddd.num_vgpr, 49
	.set _Z17chemicalPotentialPA256_A256_KdPA256_A256_dddddddd.num_agpr, 0
	.set _Z17chemicalPotentialPA256_A256_KdPA256_A256_dddddddd.numbered_sgpr, 24
	.set _Z17chemicalPotentialPA256_A256_KdPA256_A256_dddddddd.num_named_barrier, 0
	.set _Z17chemicalPotentialPA256_A256_KdPA256_A256_dddddddd.private_seg_size, 0
	.set _Z17chemicalPotentialPA256_A256_KdPA256_A256_dddddddd.uses_vcc, 1
	.set _Z17chemicalPotentialPA256_A256_KdPA256_A256_dddddddd.uses_flat_scratch, 0
	.set _Z17chemicalPotentialPA256_A256_KdPA256_A256_dddddddd.has_dyn_sized_stack, 0
	.set _Z17chemicalPotentialPA256_A256_KdPA256_A256_dddddddd.has_recursion, 0
	.set _Z17chemicalPotentialPA256_A256_KdPA256_A256_dddddddd.has_indirect_call, 0
	.section	.AMDGPU.csdata,"",@progbits
; Kernel info:
; codeLenInByte = 1148
; TotalNumSgprs: 26
; NumVgprs: 49
; ScratchSize: 0
; MemoryBound: 0
; FloatMode: 240
; IeeeMode: 1
; LDSByteSize: 0 bytes/workgroup (compile time only)
; SGPRBlocks: 0
; VGPRBlocks: 6
; NumSGPRsForWavesPerEU: 26
; NumVGPRsForWavesPerEU: 49
; Occupancy: 16
; WaveLimiterHint : 0
; COMPUTE_PGM_RSRC2:SCRATCH_EN: 0
; COMPUTE_PGM_RSRC2:USER_SGPR: 6
; COMPUTE_PGM_RSRC2:TRAP_HANDLER: 0
; COMPUTE_PGM_RSRC2:TGID_X_EN: 1
; COMPUTE_PGM_RSRC2:TGID_Y_EN: 1
; COMPUTE_PGM_RSRC2:TGID_Z_EN: 1
; COMPUTE_PGM_RSRC2:TIDIG_COMP_CNT: 2
	.text
	.protected	_Z25localFreeEnergyFunctionalPA256_A256_KdPA256_A256_dddddddd ; -- Begin function _Z25localFreeEnergyFunctionalPA256_A256_KdPA256_A256_dddddddd
	.globl	_Z25localFreeEnergyFunctionalPA256_A256_KdPA256_A256_dddddddd
	.p2align	8
	.type	_Z25localFreeEnergyFunctionalPA256_A256_KdPA256_A256_dddddddd,@function
_Z25localFreeEnergyFunctionalPA256_A256_KdPA256_A256_dddddddd: ; @_Z25localFreeEnergyFunctionalPA256_A256_KdPA256_A256_dddddddd
; %bb.0:
	s_load_dwordx2 s[0:1], s[4:5], 0x54
	s_waitcnt lgkmcnt(0)
	s_lshr_b32 s2, s0, 16
	s_and_b32 s1, s1, 0xffff
	v_mad_u64_u32 v[3:4], null, s7, s2, v[1:2]
	s_and_b32 s0, s0, 0xffff
	v_mad_u64_u32 v[5:6], null, s6, s0, v[0:1]
	s_mov_b32 s0, exec_lo
	v_mad_u64_u32 v[0:1], null, s8, s1, v[2:3]
	v_or3_b32 v1, v3, v5, v0
	v_cmpx_gt_u32_e32 0x100, v1
	s_cbranch_execz .LBB1_2
; %bb.1:
	s_load_dwordx16 s[8:23], s[4:5], 0x0
	v_sub_co_u32 v2, s0, v5, 1
	v_mov_b32_e32 v1, 0
	v_cmp_ne_u32_e32 vcc_lo, 0xff, v5
	v_add_nc_u32_e32 v13, 1, v3
	v_cndmask_b32_e64 v7, v2, 0xff, s0
	v_add_nc_u32_e32 v2, 1, v5
	v_lshlrev_b64 v[9:10], 19, v[0:1]
	v_mov_b32_e32 v4, v1
	v_mov_b32_e32 v12, v1
	;; [unrolled: 1-line block ×3, first 2 shown]
	v_cndmask_b32_e32 v11, 0, v2, vcc_lo
	v_cmp_ne_u32_e32 vcc_lo, 0xff, v3
	v_lshlrev_b64 v[15:16], 11, v[3:4]
	v_sub_co_u32 v2, s0, v3, 1
	v_mov_b32_e32 v8, v1
	v_cndmask_b32_e32 v13, 0, v13, vcc_lo
	v_mov_b32_e32 v14, v1
	s_waitcnt lgkmcnt(0)
	v_add_co_u32 v17, vcc_lo, s8, v9
	v_add_co_ci_u32_e64 v18, null, s9, v10, vcc_lo
	v_lshlrev_b64 v[11:12], 3, v[11:12]
	v_add_co_u32 v19, vcc_lo, v17, v15
	v_cndmask_b32_e64 v2, v2, 0xff, s0
	v_mov_b32_e32 v3, v1
	v_lshlrev_b64 v[4:5], 3, v[5:6]
	v_lshlrev_b64 v[6:7], 3, v[7:8]
	v_add_co_ci_u32_e64 v20, null, v18, v16, vcc_lo
	v_lshlrev_b64 v[13:14], 11, v[13:14]
	v_add_co_u32 v11, vcc_lo, v19, v11
	v_lshlrev_b64 v[2:3], 11, v[2:3]
	v_add_co_ci_u32_e64 v12, null, v20, v12, vcc_lo
	v_add_co_u32 v6, vcc_lo, v19, v6
	v_add_co_ci_u32_e64 v7, null, v20, v7, vcc_lo
	v_add_co_u32 v8, vcc_lo, v17, v13
	;; [unrolled: 2-line block ×5, first 2 shown]
	v_add_co_ci_u32_e64 v14, null, v17, v5, vcc_lo
	s_clause 0x3
	global_load_dwordx2 v[11:12], v[11:12], off
	global_load_dwordx2 v[6:7], v[6:7], off
	;; [unrolled: 1-line block ×4, first 2 shown]
	v_add_nc_u32_e32 v8, 1, v0
	v_cmp_ne_u32_e32 vcc_lo, 0xff, v0
	v_sub_co_u32 v17, s0, v0, 1
	v_mov_b32_e32 v18, v1
	v_add_f64 v[21:22], s[12:13], s[12:13]
	v_cndmask_b32_e32 v0, 0, v8, vcc_lo
	v_cndmask_b32_e64 v17, v17, 0xff, s0
	v_add_f64 v[29:30], s[16:17], s[16:17]
	s_load_dwordx2 s[2:3], s[4:5], 0x40
	v_lshlrev_b64 v[0:1], 19, v[0:1]
	v_lshlrev_b64 v[17:18], 19, v[17:18]
	v_add_co_u32 v0, vcc_lo, s8, v0
	v_add_co_ci_u32_e64 v1, null, s9, v1, vcc_lo
	v_add_co_u32 v8, vcc_lo, s8, v17
	v_add_co_ci_u32_e64 v17, null, s9, v18, vcc_lo
	;; [unrolled: 2-line block ×6, first 2 shown]
	s_clause 0x1
	global_load_dwordx2 v[0:1], v[0:1], off
	global_load_dwordx2 v[17:18], v[17:18], off
	v_add_co_u32 v19, vcc_lo, v19, v4
	v_add_co_ci_u32_e64 v20, null, v20, v5, vcc_lo
	global_load_dwordx2 v[19:20], v[19:20], off
	s_waitcnt vmcnt(5)
	v_add_f64 v[6:7], v[11:12], -v[6:7]
	v_add_f64 v[11:12], s[14:15], s[14:15]
	s_waitcnt vmcnt(3)
	v_add_f64 v[2:3], v[2:3], -v[13:14]
	v_div_scale_f64 v[13:14], null, v[21:22], v[21:22], v[6:7]
	v_div_scale_f64 v[23:24], null, v[11:12], v[11:12], v[2:3]
	v_div_scale_f64 v[43:44], vcc_lo, v[6:7], v[21:22], v[6:7]
	v_rcp_f64_e32 v[25:26], v[13:14]
	v_rcp_f64_e32 v[27:28], v[23:24]
	s_waitcnt vmcnt(1)
	v_add_f64 v[0:1], v[0:1], -v[17:18]
	s_waitcnt vmcnt(0)
	v_fma_f64 v[47:48], -v[19:20], v[19:20], 1.0
	v_fma_f64 v[17:18], -v[13:14], v[25:26], 1.0
	v_div_scale_f64 v[33:34], null, v[29:30], v[29:30], v[0:1]
	v_fma_f64 v[31:32], -v[23:24], v[27:28], 1.0
	v_fma_f64 v[17:18], v[25:26], v[17:18], v[25:26]
	v_fma_f64 v[25:26], v[27:28], v[31:32], v[27:28]
	v_rcp_f64_e32 v[27:28], v[33:34]
	v_add_f64 v[31:32], v[19:20], v[19:20]
	v_fma_f64 v[35:36], -v[13:14], v[17:18], 1.0
	v_fma_f64 v[37:38], -v[23:24], v[25:26], 1.0
	v_fma_f64 v[41:42], v[19:20], v[19:20], -v[31:32]
	v_fma_f64 v[39:40], -v[33:34], v[27:28], 1.0
	v_fma_f64 v[31:32], v[19:20], v[19:20], v[31:32]
	v_fma_f64 v[17:18], v[17:18], v[35:36], v[17:18]
	v_div_scale_f64 v[35:36], s0, v[2:3], v[11:12], v[2:3]
	v_fma_f64 v[25:26], v[25:26], v[37:38], v[25:26]
	v_add_f64 v[37:38], v[41:42], 1.0
	v_fma_f64 v[27:28], v[27:28], v[39:40], v[27:28]
	v_add_f64 v[31:32], v[31:32], 1.0
	v_mul_f64 v[39:40], v[43:44], v[17:18]
	v_mul_f64 v[41:42], v[35:36], v[25:26]
	;; [unrolled: 1-line block ×3, first 2 shown]
	v_fma_f64 v[45:46], -v[33:34], v[27:28], 1.0
	v_fma_f64 v[13:14], -v[13:14], v[39:40], v[43:44]
	v_add_f64 v[43:44], v[47:48], v[47:48]
	v_fma_f64 v[23:24], -v[23:24], v[41:42], v[35:36]
	v_div_scale_f64 v[35:36], s1, v[0:1], v[29:30], v[0:1]
	v_fma_f64 v[27:28], v[27:28], v[45:46], v[27:28]
	v_fma_f64 v[31:32], s[20:21], v[31:32], v[37:38]
	v_div_fmas_f64 v[13:14], v[13:14], v[17:18], v[39:40]
	s_mov_b32 vcc_lo, s0
	v_div_fmas_f64 v[17:18], v[23:24], v[25:26], v[41:42]
	v_ldexp_f64 v[25:26], v[19:20], -2
	s_mov_b32 vcc_lo, s1
	v_mul_f64 v[23:24], v[35:36], v[27:28]
	s_waitcnt lgkmcnt(0)
	v_fma_f64 v[31:32], s[2:3], v[43:44], v[31:32]
	v_div_fixup_f64 v[6:7], v[13:14], v[21:22], v[6:7]
	v_div_fixup_f64 v[2:3], v[17:18], v[11:12], v[2:3]
	v_mul_f64 v[17:18], 0x3ff80000, v[19:20]
	v_mul_f64 v[25:26], v[19:20], v[25:26]
	v_fma_f64 v[11:12], -v[33:34], v[23:24], v[35:36]
	v_mul_f64 v[31:32], 0x40020000, v[31:32]
	v_mul_f64 v[2:3], v[2:3], v[2:3]
	;; [unrolled: 1-line block ×3, first 2 shown]
	v_div_fmas_f64 v[11:12], v[11:12], v[27:28], v[23:24]
	v_fma_f64 v[17:18], v[19:20], v[17:18], v[31:32]
	v_fma_f64 v[2:3], v[6:7], v[6:7], v[2:3]
	v_div_fixup_f64 v[0:1], v[11:12], v[29:30], v[0:1]
	v_fma_f64 v[6:7], v[19:20], v[13:14], v[17:18]
	v_mul_f64 v[11:12], s[18:19], 0.5
	v_fma_f64 v[0:1], v[0:1], v[0:1], v[2:3]
	v_add_co_u32 v2, vcc_lo, s10, v9
	v_add_co_ci_u32_e64 v3, null, s11, v10, vcc_lo
	v_add_co_u32 v2, vcc_lo, v2, v15
	v_add_co_ci_u32_e64 v3, null, v3, v16, vcc_lo
	;; [unrolled: 2-line block ×3, first 2 shown]
	v_fma_f64 v[0:1], v[11:12], v[0:1], v[6:7]
	global_store_dwordx2 v[2:3], v[0:1], off
.LBB1_2:
	s_endpgm
	.section	.rodata,"a",@progbits
	.p2align	6, 0x0
	.amdhsa_kernel _Z25localFreeEnergyFunctionalPA256_A256_KdPA256_A256_dddddddd
		.amdhsa_group_segment_fixed_size 0
		.amdhsa_private_segment_fixed_size 0
		.amdhsa_kernarg_size 328
		.amdhsa_user_sgpr_count 6
		.amdhsa_user_sgpr_private_segment_buffer 1
		.amdhsa_user_sgpr_dispatch_ptr 0
		.amdhsa_user_sgpr_queue_ptr 0
		.amdhsa_user_sgpr_kernarg_segment_ptr 1
		.amdhsa_user_sgpr_dispatch_id 0
		.amdhsa_user_sgpr_flat_scratch_init 0
		.amdhsa_user_sgpr_private_segment_size 0
		.amdhsa_wavefront_size32 1
		.amdhsa_uses_dynamic_stack 0
		.amdhsa_system_sgpr_private_segment_wavefront_offset 0
		.amdhsa_system_sgpr_workgroup_id_x 1
		.amdhsa_system_sgpr_workgroup_id_y 1
		.amdhsa_system_sgpr_workgroup_id_z 1
		.amdhsa_system_sgpr_workgroup_info 0
		.amdhsa_system_vgpr_workitem_id 2
		.amdhsa_next_free_vgpr 49
		.amdhsa_next_free_sgpr 24
		.amdhsa_reserve_vcc 1
		.amdhsa_reserve_flat_scratch 0
		.amdhsa_float_round_mode_32 0
		.amdhsa_float_round_mode_16_64 0
		.amdhsa_float_denorm_mode_32 3
		.amdhsa_float_denorm_mode_16_64 3
		.amdhsa_dx10_clamp 1
		.amdhsa_ieee_mode 1
		.amdhsa_fp16_overflow 0
		.amdhsa_workgroup_processor_mode 1
		.amdhsa_memory_ordered 1
		.amdhsa_forward_progress 1
		.amdhsa_shared_vgpr_count 0
		.amdhsa_exception_fp_ieee_invalid_op 0
		.amdhsa_exception_fp_denorm_src 0
		.amdhsa_exception_fp_ieee_div_zero 0
		.amdhsa_exception_fp_ieee_overflow 0
		.amdhsa_exception_fp_ieee_underflow 0
		.amdhsa_exception_fp_ieee_inexact 0
		.amdhsa_exception_int_div_zero 0
	.end_amdhsa_kernel
	.text
.Lfunc_end1:
	.size	_Z25localFreeEnergyFunctionalPA256_A256_KdPA256_A256_dddddddd, .Lfunc_end1-_Z25localFreeEnergyFunctionalPA256_A256_KdPA256_A256_dddddddd
                                        ; -- End function
	.set _Z25localFreeEnergyFunctionalPA256_A256_KdPA256_A256_dddddddd.num_vgpr, 49
	.set _Z25localFreeEnergyFunctionalPA256_A256_KdPA256_A256_dddddddd.num_agpr, 0
	.set _Z25localFreeEnergyFunctionalPA256_A256_KdPA256_A256_dddddddd.numbered_sgpr, 24
	.set _Z25localFreeEnergyFunctionalPA256_A256_KdPA256_A256_dddddddd.num_named_barrier, 0
	.set _Z25localFreeEnergyFunctionalPA256_A256_KdPA256_A256_dddddddd.private_seg_size, 0
	.set _Z25localFreeEnergyFunctionalPA256_A256_KdPA256_A256_dddddddd.uses_vcc, 1
	.set _Z25localFreeEnergyFunctionalPA256_A256_KdPA256_A256_dddddddd.uses_flat_scratch, 0
	.set _Z25localFreeEnergyFunctionalPA256_A256_KdPA256_A256_dddddddd.has_dyn_sized_stack, 0
	.set _Z25localFreeEnergyFunctionalPA256_A256_KdPA256_A256_dddddddd.has_recursion, 0
	.set _Z25localFreeEnergyFunctionalPA256_A256_KdPA256_A256_dddddddd.has_indirect_call, 0
	.section	.AMDGPU.csdata,"",@progbits
; Kernel info:
; codeLenInByte = 1188
; TotalNumSgprs: 26
; NumVgprs: 49
; ScratchSize: 0
; MemoryBound: 0
; FloatMode: 240
; IeeeMode: 1
; LDSByteSize: 0 bytes/workgroup (compile time only)
; SGPRBlocks: 0
; VGPRBlocks: 6
; NumSGPRsForWavesPerEU: 26
; NumVGPRsForWavesPerEU: 49
; Occupancy: 16
; WaveLimiterHint : 0
; COMPUTE_PGM_RSRC2:SCRATCH_EN: 0
; COMPUTE_PGM_RSRC2:USER_SGPR: 6
; COMPUTE_PGM_RSRC2:TRAP_HANDLER: 0
; COMPUTE_PGM_RSRC2:TGID_X_EN: 1
; COMPUTE_PGM_RSRC2:TGID_Y_EN: 1
; COMPUTE_PGM_RSRC2:TGID_Z_EN: 1
; COMPUTE_PGM_RSRC2:TIDIG_COMP_CNT: 2
	.text
	.protected	_Z12cahnHilliardPA256_A256_dPA256_A256_KdS5_ddddd ; -- Begin function _Z12cahnHilliardPA256_A256_dPA256_A256_KdS5_ddddd
	.globl	_Z12cahnHilliardPA256_A256_dPA256_A256_KdS5_ddddd
	.p2align	8
	.type	_Z12cahnHilliardPA256_A256_dPA256_A256_KdS5_ddddd,@function
_Z12cahnHilliardPA256_A256_dPA256_A256_KdS5_ddddd: ; @_Z12cahnHilliardPA256_A256_dPA256_A256_KdS5_ddddd
; %bb.0:
	s_load_dwordx2 s[0:1], s[4:5], 0x4c
	s_waitcnt lgkmcnt(0)
	s_lshr_b32 s2, s0, 16
	s_and_b32 s0, s0, 0xffff
	s_and_b32 s1, s1, 0xffff
	v_mad_u64_u32 v[3:4], null, s6, s0, v[0:1]
	v_mad_u64_u32 v[5:6], null, s7, s2, v[1:2]
	s_mov_b32 s0, exec_lo
	v_mad_u64_u32 v[0:1], null, s8, s1, v[2:3]
	v_or3_b32 v1, v5, v3, v0
	v_cmpx_gt_u32_e32 0x100, v1
	s_cbranch_execz .LBB2_2
; %bb.1:
	v_mov_b32_e32 v1, 0
	s_load_dwordx16 s[4:19], s[4:5], 0x0
	v_cmp_ne_u32_e32 vcc_lo, 0xff, v0
	v_sub_co_u32 v2, s0, v3, 1
	v_mov_b32_e32 v6, v1
	v_mov_b32_e32 v4, v1
	v_add_nc_u32_e32 v15, 1, v5
	v_cndmask_b32_e64 v2, v2, 0xff, s0
	v_lshlrev_b64 v[7:8], 19, v[0:1]
	v_lshlrev_b64 v[9:10], 11, v[5:6]
	v_add_nc_u32_e32 v6, 1, v0
	v_lshlrev_b64 v[11:12], 3, v[3:4]
	v_sub_co_u32 v4, s0, v5, 1
	v_add_nc_u32_e32 v16, 1, v3
	v_cndmask_b32_e32 v14, 0, v6, vcc_lo
	v_cmp_ne_u32_e32 vcc_lo, 0xff, v5
	v_cndmask_b32_e64 v4, v4, 0xff, s0
	v_sub_co_u32 v13, s0, v0, 1
	v_mov_b32_e32 v6, v1
	v_cndmask_b32_e32 v5, 0, v15, vcc_lo
	v_cmp_ne_u32_e32 vcc_lo, 0xff, v3
	v_mov_b32_e32 v3, v1
	v_cndmask_b32_e64 v13, v13, 0xff, s0
	v_cndmask_b32_e32 v0, 0, v16, vcc_lo
	s_waitcnt lgkmcnt(0)
	v_add_co_u32 v23, vcc_lo, s8, v7
	v_add_co_ci_u32_e64 v24, null, s9, v8, vcc_lo
	v_lshlrev_b64 v[15:16], 3, v[0:1]
	v_add_co_u32 v0, vcc_lo, v23, v9
	v_add_co_ci_u32_e64 v20, null, v24, v10, vcc_lo
	v_lshlrev_b64 v[2:3], 3, v[2:3]
	;; [unrolled: 3-line block ×3, first 2 shown]
	v_add_co_u32 v2, vcc_lo, v0, v2
	v_mov_b32_e32 v5, v1
	v_add_co_ci_u32_e64 v3, null, v20, v3, vcc_lo
	v_add_co_u32 v19, vcc_lo, v0, v11
	v_add_co_ci_u32_e64 v20, null, v20, v12, vcc_lo
	v_add_co_u32 v0, vcc_lo, v23, v15
	v_lshlrev_b64 v[4:5], 11, v[4:5]
	v_add_co_ci_u32_e64 v6, null, v24, v16, vcc_lo
	v_add_co_u32 v21, vcc_lo, v0, v11
	v_mov_b32_e32 v15, v1
	v_add_co_ci_u32_e64 v22, null, v6, v12, vcc_lo
	v_add_co_u32 v0, vcc_lo, v23, v4
	v_add_co_ci_u32_e64 v5, null, v24, v5, vcc_lo
	v_lshlrev_b64 v[15:16], 19, v[14:15]
	v_add_co_u32 v4, vcc_lo, v0, v11
	v_mov_b32_e32 v14, v1
	v_add_co_ci_u32_e64 v5, null, v5, v12, vcc_lo
	s_clause 0x3
	global_load_dwordx2 v[0:1], v[17:18], off
	global_load_dwordx2 v[2:3], v[2:3], off
	;; [unrolled: 1-line block ×4, first 2 shown]
	v_add_co_u32 v6, vcc_lo, s8, v15
	v_lshlrev_b64 v[13:14], 19, v[13:14]
	v_add_co_ci_u32_e64 v15, null, s9, v16, vcc_lo
	v_mul_f64 v[23:24], s[18:19], s[18:19]
	v_add_co_u32 v13, vcc_lo, s8, v13
	v_add_co_ci_u32_e64 v14, null, s9, v14, vcc_lo
	v_add_co_u32 v6, vcc_lo, v6, v9
	v_add_co_ci_u32_e64 v15, null, v15, v10, vcc_lo
	;; [unrolled: 2-line block ×5, first 2 shown]
	s_clause 0x2
	global_load_dwordx2 v[19:20], v[19:20], off
	global_load_dwordx2 v[13:14], v[13:14], off
	;; [unrolled: 1-line block ×3, first 2 shown]
	v_add_co_u32 v6, vcc_lo, s6, v7
	v_add_co_ci_u32_e64 v21, null, s7, v8, vcc_lo
	v_add_co_u32 v6, vcc_lo, v6, v9
	v_add_co_ci_u32_e64 v22, null, v21, v10, vcc_lo
	;; [unrolled: 2-line block ×3, first 2 shown]
	global_load_dwordx2 v[21:22], v[21:22], off
	s_waitcnt vmcnt(6)
	v_add_f64 v[0:1], v[0:1], v[2:3]
	s_waitcnt vmcnt(4)
	v_add_f64 v[2:3], v[17:18], v[4:5]
	v_mul_f64 v[4:5], s[14:15], s[14:15]
	s_waitcnt vmcnt(3)
	v_fma_f64 v[0:1], v[19:20], -2.0, v[0:1]
	v_fma_f64 v[2:3], v[19:20], -2.0, v[2:3]
	s_waitcnt vmcnt(1)
	v_add_f64 v[13:14], v[13:14], v[15:16]
	v_mul_f64 v[15:16], s[16:17], s[16:17]
	v_div_scale_f64 v[17:18], null, v[4:5], v[4:5], v[0:1]
	v_fma_f64 v[13:14], v[19:20], -2.0, v[13:14]
	v_div_scale_f64 v[19:20], null, v[15:16], v[15:16], v[2:3]
	v_div_scale_f64 v[37:38], vcc_lo, v[0:1], v[4:5], v[0:1]
	v_div_scale_f64 v[39:40], s0, v[2:3], v[15:16], v[2:3]
	v_rcp_f64_e32 v[25:26], v[17:18]
	v_div_scale_f64 v[27:28], null, v[23:24], v[23:24], v[13:14]
	v_rcp_f64_e32 v[29:30], v[19:20]
	v_rcp_f64_e32 v[31:32], v[27:28]
	v_fma_f64 v[33:34], -v[17:18], v[25:26], 1.0
	v_fma_f64 v[35:36], -v[19:20], v[29:30], 1.0
	v_fma_f64 v[25:26], v[25:26], v[33:34], v[25:26]
	v_fma_f64 v[33:34], -v[27:28], v[31:32], 1.0
	v_fma_f64 v[29:30], v[29:30], v[35:36], v[29:30]
	;; [unrolled: 2-line block ×5, first 2 shown]
	v_div_scale_f64 v[33:34], s1, v[13:14], v[23:24], v[13:14]
	v_mul_f64 v[41:42], v[37:38], v[25:26]
	v_fma_f64 v[31:32], v[31:32], v[35:36], v[31:32]
	v_mul_f64 v[35:36], v[39:40], v[29:30]
	v_fma_f64 v[17:18], -v[17:18], v[41:42], v[37:38]
	v_mul_f64 v[37:38], v[33:34], v[31:32]
	v_fma_f64 v[19:20], -v[19:20], v[35:36], v[39:40]
	v_div_fmas_f64 v[17:18], v[17:18], v[25:26], v[41:42]
	s_mov_b32 vcc_lo, s0
	v_fma_f64 v[25:26], -v[27:28], v[37:38], v[33:34]
	v_div_fmas_f64 v[19:20], v[19:20], v[29:30], v[35:36]
	s_mov_b32 vcc_lo, s1
	v_div_fixup_f64 v[0:1], v[17:18], v[4:5], v[0:1]
	v_div_fmas_f64 v[4:5], v[25:26], v[31:32], v[37:38]
	v_div_fixup_f64 v[2:3], v[19:20], v[15:16], v[2:3]
	v_div_fixup_f64 v[4:5], v[4:5], v[23:24], v[13:14]
	v_add_f64 v[0:1], v[0:1], v[2:3]
	v_mul_f64 v[2:3], s[10:11], s[12:13]
	v_add_f64 v[0:1], v[0:1], v[4:5]
	s_waitcnt vmcnt(0)
	v_fma_f64 v[0:1], v[2:3], v[0:1], v[21:22]
	v_add_co_u32 v2, vcc_lo, s4, v7
	v_add_co_ci_u32_e64 v3, null, s5, v8, vcc_lo
	v_add_co_u32 v2, vcc_lo, v2, v9
	v_add_co_ci_u32_e64 v3, null, v3, v10, vcc_lo
	;; [unrolled: 2-line block ×3, first 2 shown]
	global_store_dwordx2 v[2:3], v[0:1], off
.LBB2_2:
	s_endpgm
	.section	.rodata,"a",@progbits
	.p2align	6, 0x0
	.amdhsa_kernel _Z12cahnHilliardPA256_A256_dPA256_A256_KdS5_ddddd
		.amdhsa_group_segment_fixed_size 0
		.amdhsa_private_segment_fixed_size 0
		.amdhsa_kernarg_size 320
		.amdhsa_user_sgpr_count 6
		.amdhsa_user_sgpr_private_segment_buffer 1
		.amdhsa_user_sgpr_dispatch_ptr 0
		.amdhsa_user_sgpr_queue_ptr 0
		.amdhsa_user_sgpr_kernarg_segment_ptr 1
		.amdhsa_user_sgpr_dispatch_id 0
		.amdhsa_user_sgpr_flat_scratch_init 0
		.amdhsa_user_sgpr_private_segment_size 0
		.amdhsa_wavefront_size32 1
		.amdhsa_uses_dynamic_stack 0
		.amdhsa_system_sgpr_private_segment_wavefront_offset 0
		.amdhsa_system_sgpr_workgroup_id_x 1
		.amdhsa_system_sgpr_workgroup_id_y 1
		.amdhsa_system_sgpr_workgroup_id_z 1
		.amdhsa_system_sgpr_workgroup_info 0
		.amdhsa_system_vgpr_workitem_id 2
		.amdhsa_next_free_vgpr 43
		.amdhsa_next_free_sgpr 20
		.amdhsa_reserve_vcc 1
		.amdhsa_reserve_flat_scratch 0
		.amdhsa_float_round_mode_32 0
		.amdhsa_float_round_mode_16_64 0
		.amdhsa_float_denorm_mode_32 3
		.amdhsa_float_denorm_mode_16_64 3
		.amdhsa_dx10_clamp 1
		.amdhsa_ieee_mode 1
		.amdhsa_fp16_overflow 0
		.amdhsa_workgroup_processor_mode 1
		.amdhsa_memory_ordered 1
		.amdhsa_forward_progress 1
		.amdhsa_shared_vgpr_count 0
		.amdhsa_exception_fp_ieee_invalid_op 0
		.amdhsa_exception_fp_denorm_src 0
		.amdhsa_exception_fp_ieee_div_zero 0
		.amdhsa_exception_fp_ieee_overflow 0
		.amdhsa_exception_fp_ieee_underflow 0
		.amdhsa_exception_fp_ieee_inexact 0
		.amdhsa_exception_int_div_zero 0
	.end_amdhsa_kernel
	.text
.Lfunc_end2:
	.size	_Z12cahnHilliardPA256_A256_dPA256_A256_KdS5_ddddd, .Lfunc_end2-_Z12cahnHilliardPA256_A256_dPA256_A256_KdS5_ddddd
                                        ; -- End function
	.set _Z12cahnHilliardPA256_A256_dPA256_A256_KdS5_ddddd.num_vgpr, 43
	.set _Z12cahnHilliardPA256_A256_dPA256_A256_KdS5_ddddd.num_agpr, 0
	.set _Z12cahnHilliardPA256_A256_dPA256_A256_KdS5_ddddd.numbered_sgpr, 20
	.set _Z12cahnHilliardPA256_A256_dPA256_A256_KdS5_ddddd.num_named_barrier, 0
	.set _Z12cahnHilliardPA256_A256_dPA256_A256_KdS5_ddddd.private_seg_size, 0
	.set _Z12cahnHilliardPA256_A256_dPA256_A256_KdS5_ddddd.uses_vcc, 1
	.set _Z12cahnHilliardPA256_A256_dPA256_A256_KdS5_ddddd.uses_flat_scratch, 0
	.set _Z12cahnHilliardPA256_A256_dPA256_A256_KdS5_ddddd.has_dyn_sized_stack, 0
	.set _Z12cahnHilliardPA256_A256_dPA256_A256_KdS5_ddddd.has_recursion, 0
	.set _Z12cahnHilliardPA256_A256_dPA256_A256_KdS5_ddddd.has_indirect_call, 0
	.section	.AMDGPU.csdata,"",@progbits
; Kernel info:
; codeLenInByte = 1108
; TotalNumSgprs: 22
; NumVgprs: 43
; ScratchSize: 0
; MemoryBound: 0
; FloatMode: 240
; IeeeMode: 1
; LDSByteSize: 0 bytes/workgroup (compile time only)
; SGPRBlocks: 0
; VGPRBlocks: 5
; NumSGPRsForWavesPerEU: 22
; NumVGPRsForWavesPerEU: 43
; Occupancy: 16
; WaveLimiterHint : 0
; COMPUTE_PGM_RSRC2:SCRATCH_EN: 0
; COMPUTE_PGM_RSRC2:USER_SGPR: 6
; COMPUTE_PGM_RSRC2:TRAP_HANDLER: 0
; COMPUTE_PGM_RSRC2:TGID_X_EN: 1
; COMPUTE_PGM_RSRC2:TGID_Y_EN: 1
; COMPUTE_PGM_RSRC2:TGID_Z_EN: 1
; COMPUTE_PGM_RSRC2:TIDIG_COMP_CNT: 2
	.text
	.protected	_Z4SwapPA256_A256_dS1_  ; -- Begin function _Z4SwapPA256_A256_dS1_
	.globl	_Z4SwapPA256_A256_dS1_
	.p2align	8
	.type	_Z4SwapPA256_A256_dS1_,@function
_Z4SwapPA256_A256_dS1_:                 ; @_Z4SwapPA256_A256_dS1_
; %bb.0:
	s_load_dwordx2 s[0:1], s[4:5], 0x1c
	s_waitcnt lgkmcnt(0)
	s_lshr_b32 s2, s0, 16
	s_and_b32 s0, s0, 0xffff
	s_and_b32 s1, s1, 0xffff
	v_mad_u64_u32 v[3:4], null, s6, s0, v[0:1]
	v_mad_u64_u32 v[0:1], null, s7, s2, v[1:2]
	s_mov_b32 s0, exec_lo
	v_mad_u64_u32 v[5:6], null, s8, s1, v[2:3]
	v_or3_b32 v1, v0, v3, v5
	v_cmpx_gt_u32_e32 0x100, v1
	s_cbranch_execz .LBB3_2
; %bb.1:
	s_load_dwordx4 s[0:3], s[4:5], 0x0
	v_mov_b32_e32 v6, 0
	v_mov_b32_e32 v1, v6
	;; [unrolled: 1-line block ×3, first 2 shown]
	v_lshlrev_b64 v[5:6], 19, v[5:6]
	v_lshlrev_b64 v[0:1], 11, v[0:1]
	;; [unrolled: 1-line block ×3, first 2 shown]
	s_waitcnt lgkmcnt(0)
	v_add_co_u32 v4, vcc_lo, s2, v5
	v_add_co_ci_u32_e64 v7, null, s3, v6, vcc_lo
	v_add_co_u32 v5, vcc_lo, s0, v5
	v_add_co_ci_u32_e64 v6, null, s1, v6, vcc_lo
	;; [unrolled: 2-line block ×6, first 2 shown]
	global_load_dwordx2 v[4:5], v[0:1], off
	global_load_dwordx2 v[6:7], v[2:3], off
	s_waitcnt vmcnt(1)
	global_store_dwordx2 v[2:3], v[4:5], off
	s_waitcnt vmcnt(0)
	global_store_dwordx2 v[0:1], v[6:7], off
.LBB3_2:
	s_endpgm
	.section	.rodata,"a",@progbits
	.p2align	6, 0x0
	.amdhsa_kernel _Z4SwapPA256_A256_dS1_
		.amdhsa_group_segment_fixed_size 0
		.amdhsa_private_segment_fixed_size 0
		.amdhsa_kernarg_size 272
		.amdhsa_user_sgpr_count 6
		.amdhsa_user_sgpr_private_segment_buffer 1
		.amdhsa_user_sgpr_dispatch_ptr 0
		.amdhsa_user_sgpr_queue_ptr 0
		.amdhsa_user_sgpr_kernarg_segment_ptr 1
		.amdhsa_user_sgpr_dispatch_id 0
		.amdhsa_user_sgpr_flat_scratch_init 0
		.amdhsa_user_sgpr_private_segment_size 0
		.amdhsa_wavefront_size32 1
		.amdhsa_uses_dynamic_stack 0
		.amdhsa_system_sgpr_private_segment_wavefront_offset 0
		.amdhsa_system_sgpr_workgroup_id_x 1
		.amdhsa_system_sgpr_workgroup_id_y 1
		.amdhsa_system_sgpr_workgroup_id_z 1
		.amdhsa_system_sgpr_workgroup_info 0
		.amdhsa_system_vgpr_workitem_id 2
		.amdhsa_next_free_vgpr 8
		.amdhsa_next_free_sgpr 9
		.amdhsa_reserve_vcc 1
		.amdhsa_reserve_flat_scratch 0
		.amdhsa_float_round_mode_32 0
		.amdhsa_float_round_mode_16_64 0
		.amdhsa_float_denorm_mode_32 3
		.amdhsa_float_denorm_mode_16_64 3
		.amdhsa_dx10_clamp 1
		.amdhsa_ieee_mode 1
		.amdhsa_fp16_overflow 0
		.amdhsa_workgroup_processor_mode 1
		.amdhsa_memory_ordered 1
		.amdhsa_forward_progress 1
		.amdhsa_shared_vgpr_count 0
		.amdhsa_exception_fp_ieee_invalid_op 0
		.amdhsa_exception_fp_denorm_src 0
		.amdhsa_exception_fp_ieee_div_zero 0
		.amdhsa_exception_fp_ieee_overflow 0
		.amdhsa_exception_fp_ieee_underflow 0
		.amdhsa_exception_fp_ieee_inexact 0
		.amdhsa_exception_int_div_zero 0
	.end_amdhsa_kernel
	.text
.Lfunc_end3:
	.size	_Z4SwapPA256_A256_dS1_, .Lfunc_end3-_Z4SwapPA256_A256_dS1_
                                        ; -- End function
	.set _Z4SwapPA256_A256_dS1_.num_vgpr, 8
	.set _Z4SwapPA256_A256_dS1_.num_agpr, 0
	.set _Z4SwapPA256_A256_dS1_.numbered_sgpr, 9
	.set _Z4SwapPA256_A256_dS1_.num_named_barrier, 0
	.set _Z4SwapPA256_A256_dS1_.private_seg_size, 0
	.set _Z4SwapPA256_A256_dS1_.uses_vcc, 1
	.set _Z4SwapPA256_A256_dS1_.uses_flat_scratch, 0
	.set _Z4SwapPA256_A256_dS1_.has_dyn_sized_stack, 0
	.set _Z4SwapPA256_A256_dS1_.has_recursion, 0
	.set _Z4SwapPA256_A256_dS1_.has_indirect_call, 0
	.section	.AMDGPU.csdata,"",@progbits
; Kernel info:
; codeLenInByte = 268
; TotalNumSgprs: 11
; NumVgprs: 8
; ScratchSize: 0
; MemoryBound: 0
; FloatMode: 240
; IeeeMode: 1
; LDSByteSize: 0 bytes/workgroup (compile time only)
; SGPRBlocks: 0
; VGPRBlocks: 0
; NumSGPRsForWavesPerEU: 11
; NumVGPRsForWavesPerEU: 8
; Occupancy: 16
; WaveLimiterHint : 0
; COMPUTE_PGM_RSRC2:SCRATCH_EN: 0
; COMPUTE_PGM_RSRC2:USER_SGPR: 6
; COMPUTE_PGM_RSRC2:TRAP_HANDLER: 0
; COMPUTE_PGM_RSRC2:TGID_X_EN: 1
; COMPUTE_PGM_RSRC2:TGID_Y_EN: 1
; COMPUTE_PGM_RSRC2:TGID_Z_EN: 1
; COMPUTE_PGM_RSRC2:TIDIG_COMP_CNT: 2
	.text
	.p2alignl 6, 3214868480
	.fill 48, 4, 3214868480
	.section	.AMDGPU.gpr_maximums,"",@progbits
	.set amdgpu.max_num_vgpr, 0
	.set amdgpu.max_num_agpr, 0
	.set amdgpu.max_num_sgpr, 0
	.text
	.type	__hip_cuid_50015213afd4f2bf,@object ; @__hip_cuid_50015213afd4f2bf
	.section	.bss,"aw",@nobits
	.globl	__hip_cuid_50015213afd4f2bf
__hip_cuid_50015213afd4f2bf:
	.byte	0                               ; 0x0
	.size	__hip_cuid_50015213afd4f2bf, 1

	.ident	"AMD clang version 22.0.0git (https://github.com/RadeonOpenCompute/llvm-project roc-7.2.4 26084 f58b06dce1f9c15707c5f808fd002e18c2accf7e)"
	.section	".note.GNU-stack","",@progbits
	.addrsig
	.addrsig_sym __hip_cuid_50015213afd4f2bf
	.amdgpu_metadata
---
amdhsa.kernels:
  - .args:
      - .address_space:  global
        .offset:         0
        .size:           8
        .value_kind:     global_buffer
      - .address_space:  global
        .offset:         8
        .size:           8
        .value_kind:     global_buffer
      - .offset:         16
        .size:           8
        .value_kind:     by_value
      - .offset:         24
        .size:           8
        .value_kind:     by_value
      - .offset:         32
        .size:           8
        .value_kind:     by_value
      - .offset:         40
        .size:           8
        .value_kind:     by_value
      - .offset:         48
        .size:           8
        .value_kind:     by_value
      - .offset:         56
        .size:           8
        .value_kind:     by_value
      - .offset:         64
        .size:           8
        .value_kind:     by_value
      - .offset:         72
        .size:           4
        .value_kind:     hidden_block_count_x
      - .offset:         76
        .size:           4
        .value_kind:     hidden_block_count_y
      - .offset:         80
        .size:           4
        .value_kind:     hidden_block_count_z
      - .offset:         84
        .size:           2
        .value_kind:     hidden_group_size_x
      - .offset:         86
        .size:           2
        .value_kind:     hidden_group_size_y
      - .offset:         88
        .size:           2
        .value_kind:     hidden_group_size_z
      - .offset:         90
        .size:           2
        .value_kind:     hidden_remainder_x
      - .offset:         92
        .size:           2
        .value_kind:     hidden_remainder_y
      - .offset:         94
        .size:           2
        .value_kind:     hidden_remainder_z
      - .offset:         112
        .size:           8
        .value_kind:     hidden_global_offset_x
      - .offset:         120
        .size:           8
        .value_kind:     hidden_global_offset_y
      - .offset:         128
        .size:           8
        .value_kind:     hidden_global_offset_z
      - .offset:         136
        .size:           2
        .value_kind:     hidden_grid_dims
    .group_segment_fixed_size: 0
    .kernarg_segment_align: 8
    .kernarg_segment_size: 328
    .language:       OpenCL C
    .language_version:
      - 2
      - 0
    .max_flat_workgroup_size: 1024
    .name:           _Z17chemicalPotentialPA256_A256_KdPA256_A256_dddddddd
    .private_segment_fixed_size: 0
    .sgpr_count:     26
    .sgpr_spill_count: 0
    .symbol:         _Z17chemicalPotentialPA256_A256_KdPA256_A256_dddddddd.kd
    .uniform_work_group_size: 1
    .uses_dynamic_stack: false
    .vgpr_count:     49
    .vgpr_spill_count: 0
    .wavefront_size: 32
    .workgroup_processor_mode: 1
  - .args:
      - .address_space:  global
        .offset:         0
        .size:           8
        .value_kind:     global_buffer
      - .address_space:  global
        .offset:         8
        .size:           8
        .value_kind:     global_buffer
      - .offset:         16
        .size:           8
        .value_kind:     by_value
      - .offset:         24
        .size:           8
        .value_kind:     by_value
      - .offset:         32
        .size:           8
        .value_kind:     by_value
      - .offset:         40
        .size:           8
        .value_kind:     by_value
      - .offset:         48
        .size:           8
        .value_kind:     by_value
      - .offset:         56
        .size:           8
        .value_kind:     by_value
      - .offset:         64
        .size:           8
        .value_kind:     by_value
      - .offset:         72
        .size:           4
        .value_kind:     hidden_block_count_x
      - .offset:         76
        .size:           4
        .value_kind:     hidden_block_count_y
      - .offset:         80
        .size:           4
        .value_kind:     hidden_block_count_z
      - .offset:         84
        .size:           2
        .value_kind:     hidden_group_size_x
      - .offset:         86
        .size:           2
        .value_kind:     hidden_group_size_y
      - .offset:         88
        .size:           2
        .value_kind:     hidden_group_size_z
      - .offset:         90
        .size:           2
        .value_kind:     hidden_remainder_x
      - .offset:         92
        .size:           2
        .value_kind:     hidden_remainder_y
      - .offset:         94
        .size:           2
        .value_kind:     hidden_remainder_z
      - .offset:         112
        .size:           8
        .value_kind:     hidden_global_offset_x
      - .offset:         120
        .size:           8
        .value_kind:     hidden_global_offset_y
      - .offset:         128
        .size:           8
        .value_kind:     hidden_global_offset_z
      - .offset:         136
        .size:           2
        .value_kind:     hidden_grid_dims
    .group_segment_fixed_size: 0
    .kernarg_segment_align: 8
    .kernarg_segment_size: 328
    .language:       OpenCL C
    .language_version:
      - 2
      - 0
    .max_flat_workgroup_size: 1024
    .name:           _Z25localFreeEnergyFunctionalPA256_A256_KdPA256_A256_dddddddd
    .private_segment_fixed_size: 0
    .sgpr_count:     26
    .sgpr_spill_count: 0
    .symbol:         _Z25localFreeEnergyFunctionalPA256_A256_KdPA256_A256_dddddddd.kd
    .uniform_work_group_size: 1
    .uses_dynamic_stack: false
    .vgpr_count:     49
    .vgpr_spill_count: 0
    .wavefront_size: 32
    .workgroup_processor_mode: 1
  - .args:
      - .address_space:  global
        .offset:         0
        .size:           8
        .value_kind:     global_buffer
      - .address_space:  global
        .offset:         8
        .size:           8
        .value_kind:     global_buffer
      - .address_space:  global
        .offset:         16
        .size:           8
        .value_kind:     global_buffer
      - .offset:         24
        .size:           8
        .value_kind:     by_value
      - .offset:         32
        .size:           8
        .value_kind:     by_value
      - .offset:         40
        .size:           8
        .value_kind:     by_value
      - .offset:         48
        .size:           8
        .value_kind:     by_value
      - .offset:         56
        .size:           8
        .value_kind:     by_value
      - .offset:         64
        .size:           4
        .value_kind:     hidden_block_count_x
      - .offset:         68
        .size:           4
        .value_kind:     hidden_block_count_y
      - .offset:         72
        .size:           4
        .value_kind:     hidden_block_count_z
      - .offset:         76
        .size:           2
        .value_kind:     hidden_group_size_x
      - .offset:         78
        .size:           2
        .value_kind:     hidden_group_size_y
      - .offset:         80
        .size:           2
        .value_kind:     hidden_group_size_z
      - .offset:         82
        .size:           2
        .value_kind:     hidden_remainder_x
      - .offset:         84
        .size:           2
        .value_kind:     hidden_remainder_y
      - .offset:         86
        .size:           2
        .value_kind:     hidden_remainder_z
      - .offset:         104
        .size:           8
        .value_kind:     hidden_global_offset_x
      - .offset:         112
        .size:           8
        .value_kind:     hidden_global_offset_y
      - .offset:         120
        .size:           8
        .value_kind:     hidden_global_offset_z
      - .offset:         128
        .size:           2
        .value_kind:     hidden_grid_dims
    .group_segment_fixed_size: 0
    .kernarg_segment_align: 8
    .kernarg_segment_size: 320
    .language:       OpenCL C
    .language_version:
      - 2
      - 0
    .max_flat_workgroup_size: 1024
    .name:           _Z12cahnHilliardPA256_A256_dPA256_A256_KdS5_ddddd
    .private_segment_fixed_size: 0
    .sgpr_count:     22
    .sgpr_spill_count: 0
    .symbol:         _Z12cahnHilliardPA256_A256_dPA256_A256_KdS5_ddddd.kd
    .uniform_work_group_size: 1
    .uses_dynamic_stack: false
    .vgpr_count:     43
    .vgpr_spill_count: 0
    .wavefront_size: 32
    .workgroup_processor_mode: 1
  - .args:
      - .address_space:  global
        .offset:         0
        .size:           8
        .value_kind:     global_buffer
      - .address_space:  global
        .offset:         8
        .size:           8
        .value_kind:     global_buffer
      - .offset:         16
        .size:           4
        .value_kind:     hidden_block_count_x
      - .offset:         20
        .size:           4
        .value_kind:     hidden_block_count_y
      - .offset:         24
        .size:           4
        .value_kind:     hidden_block_count_z
      - .offset:         28
        .size:           2
        .value_kind:     hidden_group_size_x
      - .offset:         30
        .size:           2
        .value_kind:     hidden_group_size_y
      - .offset:         32
        .size:           2
        .value_kind:     hidden_group_size_z
      - .offset:         34
        .size:           2
        .value_kind:     hidden_remainder_x
      - .offset:         36
        .size:           2
        .value_kind:     hidden_remainder_y
      - .offset:         38
        .size:           2
        .value_kind:     hidden_remainder_z
      - .offset:         56
        .size:           8
        .value_kind:     hidden_global_offset_x
      - .offset:         64
        .size:           8
        .value_kind:     hidden_global_offset_y
      - .offset:         72
        .size:           8
        .value_kind:     hidden_global_offset_z
      - .offset:         80
        .size:           2
        .value_kind:     hidden_grid_dims
    .group_segment_fixed_size: 0
    .kernarg_segment_align: 8
    .kernarg_segment_size: 272
    .language:       OpenCL C
    .language_version:
      - 2
      - 0
    .max_flat_workgroup_size: 1024
    .name:           _Z4SwapPA256_A256_dS1_
    .private_segment_fixed_size: 0
    .sgpr_count:     11
    .sgpr_spill_count: 0
    .symbol:         _Z4SwapPA256_A256_dS1_.kd
    .uniform_work_group_size: 1
    .uses_dynamic_stack: false
    .vgpr_count:     8
    .vgpr_spill_count: 0
    .wavefront_size: 32
    .workgroup_processor_mode: 1
amdhsa.target:   amdgcn-amd-amdhsa--gfx1030
amdhsa.version:
  - 1
  - 2
...

	.end_amdgpu_metadata
